;; amdgpu-corpus repo=ROCm/rocFFT kind=compiled arch=gfx1201 opt=O3
	.text
	.amdgcn_target "amdgcn-amd-amdhsa--gfx1201"
	.amdhsa_code_object_version 6
	.protected	fft_rtc_fwd_len100_factors_5_5_4_wgs_200_tpt_25_halfLds_dp_op_CI_CI_sbcc_twdbase6_3step ; -- Begin function fft_rtc_fwd_len100_factors_5_5_4_wgs_200_tpt_25_halfLds_dp_op_CI_CI_sbcc_twdbase6_3step
	.globl	fft_rtc_fwd_len100_factors_5_5_4_wgs_200_tpt_25_halfLds_dp_op_CI_CI_sbcc_twdbase6_3step
	.p2align	8
	.type	fft_rtc_fwd_len100_factors_5_5_4_wgs_200_tpt_25_halfLds_dp_op_CI_CI_sbcc_twdbase6_3step,@function
fft_rtc_fwd_len100_factors_5_5_4_wgs_200_tpt_25_halfLds_dp_op_CI_CI_sbcc_twdbase6_3step: ; @fft_rtc_fwd_len100_factors_5_5_4_wgs_200_tpt_25_halfLds_dp_op_CI_CI_sbcc_twdbase6_3step
; %bb.0:
	s_clause 0x1
	s_load_b256 s[4:11], s[0:1], 0x8
	s_load_b64 s[26:27], s[0:1], 0x28
	s_mov_b32 s2, ttmp9
	s_mov_b32 s3, exec_lo
	v_cmpx_gt_u32_e32 0xc0, v0
	s_cbranch_execz .LBB0_2
; %bb.1:
	v_lshlrev_b32_e32 v5, 4, v0
	s_wait_kmcnt 0x0
	global_load_b128 v[1:4], v5, s[4:5]
	v_add3_u32 v5, 0, v5, 0x1900
	s_wait_loadcnt 0x0
	ds_store_2addr_b64 v5, v[1:2], v[3:4] offset1:1
.LBB0_2:
	s_or_b32 exec_lo, exec_lo, s3
	s_wait_kmcnt 0x0
	s_load_b64 s[28:29], s[8:9], 0x8
	s_mov_b32 s3, 0
	s_mov_b64 s[20:21], 0
	s_wait_kmcnt 0x0
	s_add_nc_u64 s[4:5], s[28:29], -1
	s_delay_alu instid0(SALU_CYCLE_1) | instskip(NEXT) | instid1(SALU_CYCLE_1)
	s_lshr_b64 s[4:5], s[4:5], 3
	s_add_nc_u64 s[34:35], s[4:5], 1
	s_delay_alu instid0(SALU_CYCLE_1) | instskip(NEXT) | instid1(VALU_DEP_1)
	v_cmp_lt_u64_e64 s4, s[2:3], s[34:35]
	s_and_b32 vcc_lo, exec_lo, s4
	s_cbranch_vccnz .LBB0_4
; %bb.3:
	v_cvt_f32_u32_e32 v1, s34
	s_sub_co_i32 s5, 0, s34
	s_mov_b32 s21, s3
	s_delay_alu instid0(VALU_DEP_1) | instskip(NEXT) | instid1(TRANS32_DEP_1)
	v_rcp_iflag_f32_e32 v1, v1
	v_mul_f32_e32 v1, 0x4f7ffffe, v1
	s_delay_alu instid0(VALU_DEP_1) | instskip(NEXT) | instid1(VALU_DEP_1)
	v_cvt_u32_f32_e32 v1, v1
	v_readfirstlane_b32 s4, v1
	s_delay_alu instid0(VALU_DEP_1) | instskip(NEXT) | instid1(SALU_CYCLE_1)
	s_mul_i32 s5, s5, s4
	s_mul_hi_u32 s5, s4, s5
	s_delay_alu instid0(SALU_CYCLE_1) | instskip(NEXT) | instid1(SALU_CYCLE_1)
	s_add_co_i32 s4, s4, s5
	s_mul_hi_u32 s4, s2, s4
	s_delay_alu instid0(SALU_CYCLE_1) | instskip(SKIP_2) | instid1(SALU_CYCLE_1)
	s_mul_i32 s5, s4, s34
	s_add_co_i32 s12, s4, 1
	s_sub_co_i32 s5, s2, s5
	s_sub_co_i32 s13, s5, s34
	s_cmp_ge_u32 s5, s34
	s_cselect_b32 s4, s12, s4
	s_cselect_b32 s5, s13, s5
	s_add_co_i32 s12, s4, 1
	s_cmp_ge_u32 s5, s34
	s_cselect_b32 s20, s12, s4
.LBB0_4:
	s_load_b128 s[16:19], s[10:11], 0x0
	s_load_b128 s[12:15], s[26:27], 0x0
	s_load_b64 s[24:25], s[0:1], 0x0
	v_cmp_lt_u64_e64 s30, s[6:7], 3
	s_mul_u64 s[4:5], s[20:21], s[34:35]
	s_delay_alu instid0(SALU_CYCLE_1) | instskip(NEXT) | instid1(SALU_CYCLE_1)
	s_sub_nc_u64 s[4:5], s[2:3], s[4:5]
	s_lshl_b64 s[22:23], s[4:5], 3
	s_delay_alu instid0(VALU_DEP_1)
	s_and_b32 vcc_lo, exec_lo, s30
	s_wait_kmcnt 0x0
	s_mul_u64 s[30:31], s[18:19], s[22:23]
	s_mul_u64 s[4:5], s[14:15], s[22:23]
	s_cbranch_vccnz .LBB0_14
; %bb.5:
	s_add_nc_u64 s[36:37], s[26:27], 16
	s_add_nc_u64 s[38:39], s[10:11], 16
	;; [unrolled: 1-line block ×3, first 2 shown]
	s_mov_b64 s[40:41], 2
	s_mov_b32 s42, 0
.LBB0_6:                                ; =>This Inner Loop Header: Depth=1
	s_load_b64 s[44:45], s[8:9], 0x0
                                        ; implicit-def: $sgpr48_sgpr49
	s_wait_kmcnt 0x0
	s_or_b64 s[46:47], s[20:21], s[44:45]
	s_delay_alu instid0(SALU_CYCLE_1)
	s_mov_b32 s43, s47
	s_mov_b32 s47, -1
	s_cmp_lg_u64 s[42:43], 0
	s_cbranch_scc0 .LBB0_8
; %bb.7:                                ;   in Loop: Header=BB0_6 Depth=1
	s_cvt_f32_u32 s33, s44
	s_cvt_f32_u32 s43, s45
	s_sub_nc_u64 s[50:51], 0, s[44:45]
	s_mov_b32 s47, 0
	s_mov_b32 s55, s42
	s_wait_alu 0xfffe
	s_fmamk_f32 s33, s43, 0x4f800000, s33
	s_wait_alu 0xfffe
	s_delay_alu instid0(SALU_CYCLE_2) | instskip(NEXT) | instid1(TRANS32_DEP_1)
	v_s_rcp_f32 s33, s33
	s_mul_f32 s33, s33, 0x5f7ffffc
	s_wait_alu 0xfffe
	s_delay_alu instid0(SALU_CYCLE_2) | instskip(NEXT) | instid1(SALU_CYCLE_3)
	s_mul_f32 s43, s33, 0x2f800000
	s_trunc_f32 s43, s43
	s_delay_alu instid0(SALU_CYCLE_3) | instskip(SKIP_2) | instid1(SALU_CYCLE_1)
	s_fmamk_f32 s33, s43, 0xcf800000, s33
	s_cvt_u32_f32 s49, s43
	s_wait_alu 0xfffe
	s_cvt_u32_f32 s48, s33
	s_wait_alu 0xfffe
	s_delay_alu instid0(SALU_CYCLE_2)
	s_mul_u64 s[52:53], s[50:51], s[48:49]
	s_wait_alu 0xfffe
	s_mul_hi_u32 s57, s48, s53
	s_mul_i32 s56, s48, s53
	s_mul_hi_u32 s46, s48, s52
	s_mul_i32 s43, s49, s52
	s_add_nc_u64 s[56:57], s[46:47], s[56:57]
	s_mul_hi_u32 s33, s49, s52
	s_mul_hi_u32 s58, s49, s53
	s_add_co_u32 s43, s56, s43
	s_wait_alu 0xfffe
	s_add_co_ci_u32 s54, s57, s33
	s_mul_i32 s52, s49, s53
	s_add_co_ci_u32 s53, s58, 0
	s_wait_alu 0xfffe
	s_add_nc_u64 s[52:53], s[54:55], s[52:53]
	s_wait_alu 0xfffe
	v_add_co_u32 v1, s33, s48, s52
	s_delay_alu instid0(VALU_DEP_1) | instskip(SKIP_1) | instid1(VALU_DEP_1)
	s_cmp_lg_u32 s33, 0
	s_add_co_ci_u32 s49, s49, s53
	v_readfirstlane_b32 s48, v1
	s_mov_b32 s53, s42
	s_wait_alu 0xfffe
	s_delay_alu instid0(VALU_DEP_1)
	s_mul_u64 s[50:51], s[50:51], s[48:49]
	s_wait_alu 0xfffe
	s_mul_hi_u32 s55, s48, s51
	s_mul_i32 s54, s48, s51
	s_mul_hi_u32 s46, s48, s50
	s_mul_i32 s43, s49, s50
	s_add_nc_u64 s[54:55], s[46:47], s[54:55]
	s_mul_hi_u32 s33, s49, s50
	s_mul_hi_u32 s48, s49, s51
	s_add_co_u32 s43, s54, s43
	s_wait_alu 0xfffe
	s_add_co_ci_u32 s52, s55, s33
	s_mul_i32 s50, s49, s51
	s_add_co_ci_u32 s51, s48, 0
	s_wait_alu 0xfffe
	s_add_nc_u64 s[50:51], s[52:53], s[50:51]
	s_wait_alu 0xfffe
	v_add_co_u32 v1, s33, v1, s50
	s_delay_alu instid0(VALU_DEP_1) | instskip(SKIP_1) | instid1(VALU_DEP_1)
	s_cmp_lg_u32 s33, 0
	s_add_co_ci_u32 s33, s49, s51
	v_readfirstlane_b32 s43, v1
	s_wait_alu 0xfffe
	s_mul_hi_u32 s49, s20, s33
	s_mul_i32 s48, s20, s33
	s_mul_hi_u32 s51, s21, s33
	s_mul_i32 s50, s21, s33
	;; [unrolled: 2-line block ×3, first 2 shown]
	s_wait_alu 0xfffe
	s_add_nc_u64 s[48:49], s[46:47], s[48:49]
	s_mul_hi_u32 s43, s21, s43
	s_wait_alu 0xfffe
	s_add_co_u32 s33, s48, s33
	s_add_co_ci_u32 s52, s49, s43
	s_add_co_ci_u32 s51, s51, 0
	s_wait_alu 0xfffe
	s_add_nc_u64 s[48:49], s[52:53], s[50:51]
	s_wait_alu 0xfffe
	s_mul_u64 s[50:51], s[44:45], s[48:49]
	s_add_nc_u64 s[52:53], s[48:49], 1
	s_wait_alu 0xfffe
	v_sub_co_u32 v1, s33, s20, s50
	s_sub_co_i32 s43, s21, s51
	s_cmp_lg_u32 s33, 0
	s_add_nc_u64 s[54:55], s[48:49], 2
	s_delay_alu instid0(VALU_DEP_1) | instskip(SKIP_2) | instid1(VALU_DEP_1)
	v_sub_co_u32 v2, s46, v1, s44
	s_sub_co_ci_u32 s43, s43, s45
	s_cmp_lg_u32 s46, 0
	v_readfirstlane_b32 s46, v2
	s_sub_co_ci_u32 s43, s43, 0
	s_delay_alu instid0(SALU_CYCLE_1) | instskip(SKIP_1) | instid1(VALU_DEP_1)
	s_cmp_ge_u32 s43, s45
	s_cselect_b32 s50, -1, 0
	s_cmp_ge_u32 s46, s44
	s_cselect_b32 s46, -1, 0
	s_cmp_eq_u32 s43, s45
	s_wait_alu 0xfffe
	s_cselect_b32 s43, s46, s50
	s_delay_alu instid0(SALU_CYCLE_1)
	s_cmp_lg_u32 s43, 0
	s_cselect_b32 s43, s54, s52
	s_cselect_b32 s46, s55, s53
	s_cmp_lg_u32 s33, 0
	v_readfirstlane_b32 s33, v1
	s_sub_co_ci_u32 s50, s21, s51
	s_wait_alu 0xfffe
	s_cmp_ge_u32 s50, s45
	s_cselect_b32 s51, -1, 0
	s_cmp_ge_u32 s33, s44
	s_cselect_b32 s33, -1, 0
	s_cmp_eq_u32 s50, s45
	s_wait_alu 0xfffe
	s_cselect_b32 s33, s33, s51
	s_wait_alu 0xfffe
	s_cmp_lg_u32 s33, 0
	s_cselect_b32 s49, s46, s49
	s_cselect_b32 s48, s43, s48
.LBB0_8:                                ;   in Loop: Header=BB0_6 Depth=1
	s_and_not1_b32 vcc_lo, exec_lo, s47
	s_cbranch_vccnz .LBB0_10
; %bb.9:                                ;   in Loop: Header=BB0_6 Depth=1
	v_cvt_f32_u32_e32 v1, s44
	s_sub_co_i32 s43, 0, s44
	s_mov_b32 s49, s42
	s_delay_alu instid0(VALU_DEP_1) | instskip(NEXT) | instid1(TRANS32_DEP_1)
	v_rcp_iflag_f32_e32 v1, v1
	v_mul_f32_e32 v1, 0x4f7ffffe, v1
	s_delay_alu instid0(VALU_DEP_1) | instskip(NEXT) | instid1(VALU_DEP_1)
	v_cvt_u32_f32_e32 v1, v1
	v_readfirstlane_b32 s33, v1
	s_delay_alu instid0(VALU_DEP_1) | instskip(NEXT) | instid1(SALU_CYCLE_1)
	s_mul_i32 s43, s43, s33
	s_mul_hi_u32 s43, s33, s43
	s_delay_alu instid0(SALU_CYCLE_1)
	s_add_co_i32 s33, s33, s43
	s_wait_alu 0xfffe
	s_mul_hi_u32 s33, s20, s33
	s_wait_alu 0xfffe
	s_mul_i32 s43, s33, s44
	s_add_co_i32 s46, s33, 1
	s_sub_co_i32 s43, s20, s43
	s_delay_alu instid0(SALU_CYCLE_1)
	s_sub_co_i32 s47, s43, s44
	s_cmp_ge_u32 s43, s44
	s_cselect_b32 s33, s46, s33
	s_cselect_b32 s43, s47, s43
	s_wait_alu 0xfffe
	s_add_co_i32 s46, s33, 1
	s_cmp_ge_u32 s43, s44
	s_cselect_b32 s48, s46, s33
.LBB0_10:                               ;   in Loop: Header=BB0_6 Depth=1
	s_load_b64 s[46:47], s[38:39], 0x0
	s_load_b64 s[50:51], s[36:37], 0x0
	s_add_nc_u64 s[40:41], s[40:41], 1
	s_mul_u64 s[34:35], s[44:45], s[34:35]
	s_wait_alu 0xfffe
	v_cmp_ge_u64_e64 s33, s[40:41], s[6:7]
	s_mul_u64 s[44:45], s[48:49], s[44:45]
	s_add_nc_u64 s[36:37], s[36:37], 8
	s_wait_alu 0xfffe
	s_sub_nc_u64 s[20:21], s[20:21], s[44:45]
	s_add_nc_u64 s[38:39], s[38:39], 8
	s_add_nc_u64 s[8:9], s[8:9], 8
	s_and_b32 vcc_lo, exec_lo, s33
	s_wait_kmcnt 0x0
	s_wait_alu 0xfffe
	s_mul_u64 s[44:45], s[46:47], s[20:21]
	s_mul_u64 s[20:21], s[50:51], s[20:21]
	s_wait_alu 0xfffe
	s_add_nc_u64 s[30:31], s[44:45], s[30:31]
	s_add_nc_u64 s[4:5], s[20:21], s[4:5]
	s_cbranch_vccnz .LBB0_12
; %bb.11:                               ;   in Loop: Header=BB0_6 Depth=1
	s_mov_b64 s[20:21], s[48:49]
	s_branch .LBB0_6
.LBB0_12:
	v_cmp_lt_u64_e64 s3, s[2:3], s[34:35]
	s_mov_b64 s[20:21], 0
	s_delay_alu instid0(VALU_DEP_1)
	s_and_b32 vcc_lo, exec_lo, s3
	s_cbranch_vccnz .LBB0_14
; %bb.13:
	v_cvt_f32_u32_e32 v1, s34
	s_sub_co_i32 s8, 0, s34
	s_mov_b32 s21, 0
	s_delay_alu instid0(VALU_DEP_1) | instskip(NEXT) | instid1(TRANS32_DEP_1)
	v_rcp_iflag_f32_e32 v1, v1
	v_mul_f32_e32 v1, 0x4f7ffffe, v1
	s_delay_alu instid0(VALU_DEP_1) | instskip(NEXT) | instid1(VALU_DEP_1)
	v_cvt_u32_f32_e32 v1, v1
	v_readfirstlane_b32 s3, v1
	s_delay_alu instid0(VALU_DEP_1) | instskip(NEXT) | instid1(SALU_CYCLE_1)
	s_mul_i32 s8, s8, s3
	s_mul_hi_u32 s8, s3, s8
	s_delay_alu instid0(SALU_CYCLE_1) | instskip(SKIP_4) | instid1(SALU_CYCLE_1)
	s_add_co_i32 s3, s3, s8
	s_wait_alu 0xfffe
	s_mul_hi_u32 s3, s2, s3
	s_wait_alu 0xfffe
	s_mul_i32 s8, s3, s34
	s_sub_co_i32 s2, s2, s8
	s_add_co_i32 s8, s3, 1
	s_wait_alu 0xfffe
	s_sub_co_i32 s9, s2, s34
	s_cmp_ge_u32 s2, s34
	s_cselect_b32 s3, s8, s3
	s_cselect_b32 s2, s9, s2
	s_wait_alu 0xfffe
	s_add_co_i32 s8, s3, 1
	s_cmp_ge_u32 s2, s34
	s_cselect_b32 s20, s8, s3
.LBB0_14:
	s_load_b128 s[0:3], s[0:1], 0x60
	v_and_b32_e32 v32, 7, v0
	v_lshrrev_b32_e32 v31, 3, v0
	v_mov_b32_e32 v2, s23
	s_add_nc_u64 s[8:9], s[22:23], 8
	s_lshl_b64 s[6:7], s[6:7], 3
	v_or_b32_e32 v1, s22, v32
	v_add_nc_u32_e32 v29, 25, v31
	v_cmp_le_u64_e64 s8, s[8:9], s[28:29]
	v_mul_u32_u24_e32 v33, 0x640, v32
	v_lshlrev_b32_e32 v34, 4, v31
	v_cmp_gt_u64_e32 vcc_lo, s[28:29], v[1:2]
	v_add_nc_u32_e32 v30, 50, v31
	v_add_nc_u32_e32 v28, 0x4b, v31
	s_or_b32 s8, s8, vcc_lo
	s_wait_alu 0xfffe
	s_and_saveexec_b32 s9, s8
	s_cbranch_execz .LBB0_16
; %bb.15:
	s_add_nc_u64 s[10:11], s[10:11], s[6:7]
	v_mad_co_u64_u32 v[1:2], null, s18, v32, 0
	s_load_b64 s[10:11], s[10:11], 0x0
	v_mad_co_u64_u32 v[3:4], null, s16, v31, 0
	v_mad_co_u64_u32 v[5:6], null, s16, v29, 0
	;; [unrolled: 1-line block ×3, first 2 shown]
	s_lshl_b64 s[28:29], s[30:31], 4
	v_add3_u32 v17, 0, v33, v34
	s_delay_alu instid0(VALU_DEP_4) | instskip(SKIP_3) | instid1(VALU_DEP_4)
	v_mad_co_u64_u32 v[9:10], null, s19, v32, v[2:3]
	v_mad_co_u64_u32 v[10:11], null, s16, v28, 0
	;; [unrolled: 1-line block ×4, first 2 shown]
	v_mov_b32_e32 v2, v9
	v_mad_co_u64_u32 v[8:9], null, s17, v30, v[8:9]
	v_mov_b32_e32 v9, v11
	s_wait_kmcnt 0x0
	s_mul_u64 s[10:11], s[10:11], s[20:21]
	v_lshlrev_b64_e32 v[1:2], 4, v[1:2]
	s_lshl_b64 s[10:11], s[10:11], 4
	v_mov_b32_e32 v4, v12
	s_add_nc_u64 s[0:1], s[0:1], s[10:11]
	v_mov_b32_e32 v6, v13
	s_wait_alu 0xfffe
	s_add_nc_u64 s[0:1], s[0:1], s[28:29]
	s_delay_alu instid0(SALU_CYCLE_1)
	v_add_co_u32 v12, vcc_lo, s0, v1
	v_add_co_ci_u32_e32 v14, vcc_lo, s1, v2, vcc_lo
	v_lshlrev_b64_e32 v[1:2], 4, v[3:4]
	v_mad_co_u64_u32 v[3:4], null, s17, v28, v[9:10]
	v_lshlrev_b64_e32 v[4:5], 4, v[5:6]
	v_lshlrev_b64_e32 v[6:7], 4, v[7:8]
	s_delay_alu instid0(VALU_DEP_4)
	v_add_co_u32 v1, vcc_lo, v12, v1
	s_wait_alu 0xfffd
	v_add_co_ci_u32_e32 v2, vcc_lo, v14, v2, vcc_lo
	v_mov_b32_e32 v11, v3
	v_add_co_u32 v8, vcc_lo, v12, v4
	s_wait_alu 0xfffd
	v_add_co_ci_u32_e32 v9, vcc_lo, v14, v5, vcc_lo
	s_delay_alu instid0(VALU_DEP_3) | instskip(SKIP_3) | instid1(VALU_DEP_3)
	v_lshlrev_b64_e32 v[3:4], 4, v[10:11]
	v_add_co_u32 v10, vcc_lo, v12, v6
	s_wait_alu 0xfffd
	v_add_co_ci_u32_e32 v11, vcc_lo, v14, v7, vcc_lo
	v_add_co_u32 v13, vcc_lo, v12, v3
	s_wait_alu 0xfffd
	v_add_co_ci_u32_e32 v14, vcc_lo, v14, v4, vcc_lo
	s_clause 0x3
	global_load_b128 v[1:4], v[1:2], off
	global_load_b128 v[5:8], v[8:9], off
	global_load_b128 v[9:12], v[10:11], off
	global_load_b128 v[13:16], v[13:14], off
	s_wait_loadcnt 0x3
	ds_store_b128 v17, v[1:4]
	s_wait_loadcnt 0x2
	ds_store_b128 v17, v[5:8] offset:400
	s_wait_loadcnt 0x1
	ds_store_b128 v17, v[9:12] offset:800
	;; [unrolled: 2-line block ×3, first 2 shown]
.LBB0_16:
	s_wait_alu 0xfffe
	s_or_b32 exec_lo, exec_lo, s9
	v_mul_hi_u32 v37, 0xa3d70a4, v0
	global_wb scope:SCOPE_SE
	s_wait_dscnt 0x0
	s_wait_kmcnt 0x0
	s_barrier_signal -1
	s_barrier_wait -1
	global_inv scope:SCOPE_SE
	s_mov_b32 s0, 0x134454ff
	s_mov_b32 s1, 0x3fee6f0e
	;; [unrolled: 1-line block ×3, first 2 shown]
	v_mul_u32_u24_e32 v1, 25, v37
	v_and_b32_e32 v40, 7, v37
	s_wait_alu 0xfffe
	s_mov_b32 s10, s0
	s_delay_alu instid0(VALU_DEP_2) | instskip(NEXT) | instid1(VALU_DEP_2)
	v_sub_nc_u32_e32 v36, v0, v1
	v_mul_u32_u24_e32 v41, 0x64, v40
	s_delay_alu instid0(VALU_DEP_2) | instskip(NEXT) | instid1(VALU_DEP_2)
	v_lshlrev_b32_e32 v20, 4, v36
	v_lshlrev_b32_e32 v21, 4, v41
	v_cmp_gt_u32_e32 vcc_lo, 20, v36
	s_delay_alu instid0(VALU_DEP_3) | instskip(NEXT) | instid1(VALU_DEP_3)
	v_add_nc_u32_e32 v42, 0, v20
	v_add_nc_u32_e32 v43, 0, v21
	s_delay_alu instid0(VALU_DEP_2) | instskip(NEXT) | instid1(VALU_DEP_2)
	v_add_nc_u32_e32 v35, v42, v21
	v_add_nc_u32_e32 v20, v43, v20
	ds_load_b128 v[8:11], v35 offset:640
	ds_load_b128 v[4:7], v35 offset:960
	;; [unrolled: 1-line block ×4, first 2 shown]
	ds_load_b128 v[20:23], v20
	s_wait_dscnt 0x3
	v_add_f64_e32 v[0:1], v[8:9], v[4:5]
	v_add_f64_e64 v[38:39], v[10:11], -v[6:7]
	s_wait_dscnt 0x1
	v_add_f64_e32 v[2:3], v[16:17], v[12:13]
	s_wait_dscnt 0x0
	v_add_f64_e32 v[24:25], v[20:21], v[16:17]
	v_add_f64_e64 v[26:27], v[18:19], -v[14:15]
	v_add_f64_e64 v[44:45], v[12:13], -v[4:5]
	;; [unrolled: 1-line block ×4, first 2 shown]
	v_fma_f64 v[0:1], v[0:1], -0.5, v[20:21]
	v_fma_f64 v[2:3], v[2:3], -0.5, v[20:21]
	v_add_f64_e64 v[20:21], v[16:17], -v[8:9]
	v_add_f64_e32 v[24:25], v[24:25], v[8:9]
	v_add_f64_e32 v[46:47], v[46:47], v[48:49]
	v_fma_f64 v[50:51], v[26:27], s[0:1], v[0:1]
	v_fma_f64 v[0:1], v[26:27], s[10:11], v[0:1]
	;; [unrolled: 1-line block ×4, first 2 shown]
	s_mov_b32 s0, 0x4755a5e
	s_mov_b32 s1, 0x3fe2cf23
	;; [unrolled: 1-line block ×3, first 2 shown]
	s_wait_alu 0xfffe
	s_mov_b32 s10, s0
	v_add_f64_e32 v[44:45], v[20:21], v[44:45]
	v_add_f64_e32 v[20:21], v[24:25], v[4:5]
	v_fma_f64 v[24:25], v[38:39], s[0:1], v[50:51]
	s_wait_alu 0xfffe
	v_fma_f64 v[0:1], v[38:39], s[10:11], v[0:1]
	v_fma_f64 v[38:39], v[26:27], s[0:1], v[52:53]
	;; [unrolled: 1-line block ×3, first 2 shown]
	s_mov_b32 s0, 0x372fe950
	s_mov_b32 s1, 0x3fd3c6ef
	v_add_f64_e32 v[20:21], v[20:21], v[12:13]
	s_wait_alu 0xfffe
	v_fma_f64 v[24:25], v[44:45], s[0:1], v[24:25]
	v_fma_f64 v[2:3], v[44:45], s[0:1], v[0:1]
	;; [unrolled: 1-line block ×4, first 2 shown]
	v_lshlrev_b32_e32 v38, 3, v41
	s_and_saveexec_b32 s0, vcc_lo
	s_cbranch_execz .LBB0_18
; %bb.17:
	v_mul_i32_i24_e32 v39, 24, v36
	s_delay_alu instid0(VALU_DEP_1)
	v_add3_u32 v39, v42, v39, v38
	ds_store_2addr_b64 v39, v[20:21], v[24:25] offset1:1
	ds_store_2addr_b64 v39, v[26:27], v[0:1] offset0:2 offset1:3
	ds_store_b64 v39, v[2:3] offset:32
.LBB0_18:
	s_wait_alu 0xfffe
	s_or_b32 exec_lo, exec_lo, s0
	v_lshlrev_b32_e32 v39, 3, v36
	global_wb scope:SCOPE_SE
	s_wait_dscnt 0x0
	s_barrier_signal -1
	s_barrier_wait -1
	global_inv scope:SCOPE_SE
	s_and_saveexec_b32 s0, vcc_lo
	s_cbranch_execz .LBB0_20
; %bb.19:
	v_sub_nc_u32_e32 v0, v42, v39
	v_mul_i32_i24_e32 v1, 0xfffffce0, v40
	s_delay_alu instid0(VALU_DEP_2) | instskip(NEXT) | instid1(VALU_DEP_2)
	v_lshl_add_u32 v0, v41, 3, v0
	v_add3_u32 v20, v43, v1, v39
	ds_load_2addr_b64 v[24:27], v0 offset0:20 offset1:40
	ds_load_2addr_b64 v[0:3], v0 offset0:60 offset1:80
	ds_load_b64 v[20:21], v20
.LBB0_20:
	s_wait_alu 0xfffe
	s_or_b32 exec_lo, exec_lo, s0
	v_add_f64_e32 v[40:41], v[10:11], v[6:7]
	v_add_f64_e32 v[42:43], v[18:19], v[14:15]
	;; [unrolled: 1-line block ×3, first 2 shown]
	v_add_f64_e64 v[12:13], v[16:17], -v[12:13]
	v_add_f64_e64 v[4:5], v[8:9], -v[4:5]
	s_mov_b32 s0, 0x134454ff
	s_mov_b32 s1, 0xbfee6f0e
	;; [unrolled: 1-line block ×3, first 2 shown]
	s_wait_alu 0xfffe
	s_mov_b32 s10, s0
	global_wb scope:SCOPE_SE
	s_wait_dscnt 0x0
	s_barrier_signal -1
	s_barrier_wait -1
	global_inv scope:SCOPE_SE
	v_fma_f64 v[16:17], v[40:41], -0.5, v[22:23]
	v_fma_f64 v[8:9], v[42:43], -0.5, v[22:23]
	v_add_f64_e64 v[22:23], v[18:19], -v[10:11]
	v_add_f64_e64 v[40:41], v[14:15], -v[6:7]
	v_add_f64_e64 v[18:19], v[10:11], -v[18:19]
	v_add_f64_e64 v[42:43], v[6:7], -v[14:15]
	v_add_f64_e32 v[10:11], v[44:45], v[10:11]
	v_fma_f64 v[44:45], v[12:13], s[0:1], v[16:17]
	s_wait_alu 0xfffe
	v_fma_f64 v[16:17], v[12:13], s[10:11], v[16:17]
	v_fma_f64 v[46:47], v[4:5], s[10:11], v[8:9]
	;; [unrolled: 1-line block ×3, first 2 shown]
	s_mov_b32 s0, 0x4755a5e
	s_mov_b32 s1, 0xbfe2cf23
	;; [unrolled: 1-line block ×3, first 2 shown]
	s_wait_alu 0xfffe
	s_mov_b32 s10, s0
	v_add_f64_e32 v[22:23], v[22:23], v[40:41]
	v_add_f64_e32 v[18:19], v[18:19], v[42:43]
	;; [unrolled: 1-line block ×3, first 2 shown]
	v_fma_f64 v[10:11], v[4:5], s[0:1], v[44:45]
	s_wait_alu 0xfffe
	v_fma_f64 v[4:5], v[4:5], s[10:11], v[16:17]
	v_fma_f64 v[16:17], v[12:13], s[0:1], v[46:47]
	;; [unrolled: 1-line block ×3, first 2 shown]
	s_mov_b32 s0, 0x372fe950
	s_mov_b32 s1, 0x3fd3c6ef
	v_add_f64_e32 v[8:9], v[6:7], v[14:15]
	s_wait_alu 0xfffe
	v_fma_f64 v[12:13], v[22:23], s[0:1], v[10:11]
	v_fma_f64 v[6:7], v[22:23], s[0:1], v[4:5]
	;; [unrolled: 1-line block ×4, first 2 shown]
	s_and_saveexec_b32 s0, vcc_lo
	s_cbranch_execz .LBB0_22
; %bb.21:
	v_mul_i32_i24_e32 v14, 40, v36
	s_delay_alu instid0(VALU_DEP_1)
	v_add3_u32 v14, 0, v14, v38
	ds_store_2addr_b64 v14, v[8:9], v[12:13] offset1:1
	ds_store_2addr_b64 v14, v[10:11], v[4:5] offset0:2 offset1:3
	ds_store_b64 v14, v[6:7] offset:32
.LBB0_22:
	s_wait_alu 0xfffe
	s_or_b32 exec_lo, exec_lo, s0
	global_wb scope:SCOPE_SE
	s_wait_dscnt 0x0
	s_barrier_signal -1
	s_barrier_wait -1
	global_inv scope:SCOPE_SE
	s_and_saveexec_b32 s0, vcc_lo
	s_cbranch_execz .LBB0_24
; %bb.23:
	v_add3_u32 v8, 0, v39, v38
	ds_load_2addr_b64 v[4:7], v8 offset0:60 offset1:80
	ds_load_2addr_b64 v[12:15], v8 offset0:20 offset1:40
	v_add3_u32 v8, 0, v38, v39
	ds_load_b64 v[8:9], v8
	s_wait_dscnt 0x1
	v_dual_mov_b32 v10, v14 :: v_dual_mov_b32 v11, v15
.LBB0_24:
	s_wait_alu 0xfffe
	s_or_b32 exec_lo, exec_lo, s0
	v_and_b32_e32 v14, 0xff, v36
	s_delay_alu instid0(VALU_DEP_1) | instskip(NEXT) | instid1(VALU_DEP_1)
	v_mul_lo_u16 v14, 0xcd, v14
	v_lshrrev_b16 v56, 10, v14
	s_delay_alu instid0(VALU_DEP_1) | instskip(NEXT) | instid1(VALU_DEP_1)
	v_mul_lo_u16 v14, v56, 5
	v_sub_nc_u16 v14, v36, v14
	s_delay_alu instid0(VALU_DEP_1) | instskip(NEXT) | instid1(VALU_DEP_1)
	v_and_b32_e32 v57, 0xff, v14
	v_lshlrev_b32_e32 v18, 6, v57
	s_clause 0x3
	global_load_b128 v[14:17], v18, s[24:25]
	global_load_b128 v[40:43], v18, s[24:25] offset:16
	global_load_b128 v[44:47], v18, s[24:25] offset:32
	global_load_b128 v[48:51], v18, s[24:25] offset:48
	global_wb scope:SCOPE_SE
	s_wait_loadcnt_dscnt 0x0
	s_barrier_signal -1
	s_barrier_wait -1
	global_inv scope:SCOPE_SE
	v_mul_f64_e32 v[18:19], v[12:13], v[16:17]
	v_mul_f64_e32 v[16:17], v[24:25], v[16:17]
	;; [unrolled: 1-line block ×8, first 2 shown]
	v_fma_f64 v[18:19], v[24:25], v[14:15], -v[18:19]
	v_fma_f64 v[16:17], v[12:13], v[14:15], v[16:17]
	v_fma_f64 v[22:23], v[26:27], v[40:41], -v[22:23]
	v_fma_f64 v[14:15], v[10:11], v[40:41], v[42:43]
	;; [unrolled: 2-line block ×4, first 2 shown]
	v_mul_lo_u16 v41, v56, 25
	v_lshl_add_u32 v40, v57, 3, 0
	s_and_saveexec_b32 s0, vcc_lo
	s_cbranch_execz .LBB0_26
; %bb.25:
	v_add_f64_e32 v[2:3], v[22:23], v[24:25]
	v_add_f64_e32 v[0:1], v[18:19], v[26:27]
	v_add_f64_e64 v[6:7], v[16:17], -v[10:11]
	v_add_f64_e32 v[42:43], v[20:21], v[18:19]
	v_add_f64_e64 v[4:5], v[14:15], -v[12:13]
	s_mov_b32 s10, 0x134454ff
	s_mov_b32 s11, 0x3fee6f0e
	;; [unrolled: 1-line block ×3, first 2 shown]
	s_wait_alu 0xfffe
	s_mov_b32 s16, s10
	v_add_f64_e64 v[44:45], v[24:25], -v[26:27]
	v_add_f64_e64 v[46:47], v[18:19], -v[22:23]
	;; [unrolled: 1-line block ×3, first 2 shown]
	v_fma_f64 v[2:3], v[2:3], -0.5, v[20:21]
	v_fma_f64 v[0:1], v[0:1], -0.5, v[20:21]
	v_add_f64_e64 v[20:21], v[22:23], -v[18:19]
	v_add_f64_e32 v[42:43], v[42:43], v[22:23]
	s_delay_alu instid0(VALU_DEP_4) | instskip(NEXT) | instid1(VALU_DEP_4)
	v_fma_f64 v[52:53], v[6:7], s[10:11], v[2:3]
	v_fma_f64 v[50:51], v[4:5], s[10:11], v[0:1]
	s_wait_alu 0xfffe
	v_fma_f64 v[0:1], v[4:5], s[16:17], v[0:1]
	v_fma_f64 v[2:3], v[6:7], s[16:17], v[2:3]
	s_mov_b32 s10, 0x4755a5e
	s_mov_b32 s11, 0xbfe2cf23
	;; [unrolled: 1-line block ×3, first 2 shown]
	s_wait_alu 0xfffe
	s_mov_b32 s16, s10
	v_add_f64_e32 v[20:21], v[20:21], v[44:45]
	v_add_f64_e32 v[44:45], v[46:47], v[48:49]
	v_add_f64_e32 v[42:43], v[42:43], v[24:25]
	s_wait_alu 0xfffe
	v_fma_f64 v[48:49], v[4:5], s[16:17], v[52:53]
	v_fma_f64 v[46:47], v[6:7], s[10:11], v[50:51]
	;; [unrolled: 1-line block ×4, first 2 shown]
	s_mov_b32 s10, 0x372fe950
	s_mov_b32 s11, 0x3fd3c6ef
	v_add_f64_e32 v[4:5], v[42:43], v[26:27]
	s_wait_alu 0xfffe
	v_fma_f64 v[42:43], v[44:45], s[10:11], v[48:49]
	v_fma_f64 v[6:7], v[20:21], s[10:11], v[46:47]
	;; [unrolled: 1-line block ×4, first 2 shown]
	v_and_b32_e32 v20, 0xff, v41
	s_delay_alu instid0(VALU_DEP_1) | instskip(NEXT) | instid1(VALU_DEP_1)
	v_lshlrev_b32_e32 v20, 3, v20
	v_add3_u32 v20, v40, v20, v38
	ds_store_2addr_b64 v20, v[4:5], v[42:43] offset1:5
	ds_store_2addr_b64 v20, v[0:1], v[6:7] offset0:10 offset1:15
	ds_store_b64 v20, v[2:3] offset:160
.LBB0_26:
	s_wait_alu 0xfffe
	s_or_b32 exec_lo, exec_lo, s0
	v_add3_u32 v21, 0, v39, v38
	v_add3_u32 v20, 0, v38, v39
	global_wb scope:SCOPE_SE
	s_wait_dscnt 0x0
	s_barrier_signal -1
	s_barrier_wait -1
	global_inv scope:SCOPE_SE
	ds_load_2addr_b64 v[0:3], v21 offset0:25 offset1:50
	ds_load_b64 v[4:5], v20
	ds_load_b64 v[6:7], v21 offset:600
	s_add_nc_u64 s[0:1], s[26:27], s[6:7]
	global_wb scope:SCOPE_SE
	s_wait_dscnt 0x0
	s_barrier_signal -1
	s_barrier_wait -1
	global_inv scope:SCOPE_SE
	s_and_saveexec_b32 s6, vcc_lo
	s_cbranch_execz .LBB0_28
; %bb.27:
	v_add_f64_e32 v[42:43], v[14:15], v[12:13]
	v_add_f64_e32 v[44:45], v[16:17], v[10:11]
	v_add_f64_e32 v[46:47], v[8:9], v[16:17]
	v_add_f64_e64 v[18:19], v[18:19], -v[26:27]
	v_add_f64_e64 v[22:23], v[22:23], -v[24:25]
	s_mov_b32 s10, 0x134454ff
	s_mov_b32 s11, 0xbfee6f0e
	;; [unrolled: 1-line block ×3, first 2 shown]
	s_wait_alu 0xfffe
	s_mov_b32 s16, s10
	v_add_f64_e64 v[26:27], v[16:17], -v[14:15]
	v_add_f64_e64 v[16:17], v[14:15], -v[16:17]
	v_fma_f64 v[24:25], v[42:43], -0.5, v[8:9]
	v_fma_f64 v[8:9], v[44:45], -0.5, v[8:9]
	v_add_f64_e64 v[42:43], v[10:11], -v[12:13]
	v_add_f64_e32 v[14:15], v[46:47], v[14:15]
	v_add_f64_e64 v[44:45], v[12:13], -v[10:11]
	v_fma_f64 v[46:47], v[18:19], s[10:11], v[24:25]
	s_wait_alu 0xfffe
	v_fma_f64 v[48:49], v[22:23], s[16:17], v[8:9]
	v_fma_f64 v[8:9], v[22:23], s[10:11], v[8:9]
	;; [unrolled: 1-line block ×3, first 2 shown]
	s_mov_b32 s10, 0x4755a5e
	s_mov_b32 s11, 0xbfe2cf23
	;; [unrolled: 1-line block ×3, first 2 shown]
	s_wait_alu 0xfffe
	s_mov_b32 s16, s10
	v_add_f64_e32 v[26:27], v[26:27], v[42:43]
	v_add_f64_e32 v[12:13], v[14:15], v[12:13]
	;; [unrolled: 1-line block ×3, first 2 shown]
	v_fma_f64 v[14:15], v[22:23], s[10:11], v[46:47]
	v_fma_f64 v[42:43], v[18:19], s[10:11], v[48:49]
	s_wait_alu 0xfffe
	v_fma_f64 v[8:9], v[18:19], s[16:17], v[8:9]
	v_fma_f64 v[18:19], v[22:23], s[16:17], v[24:25]
	s_mov_b32 s10, 0x372fe950
	s_mov_b32 s11, 0x3fd3c6ef
	v_add_f64_e32 v[10:11], v[12:13], v[10:11]
	s_wait_alu 0xfffe
	v_fma_f64 v[12:13], v[26:27], s[10:11], v[14:15]
	v_fma_f64 v[14:15], v[16:17], s[10:11], v[42:43]
	v_fma_f64 v[8:9], v[16:17], s[10:11], v[8:9]
	v_fma_f64 v[16:17], v[26:27], s[10:11], v[18:19]
	v_and_b32_e32 v18, 0xff, v41
	s_delay_alu instid0(VALU_DEP_1) | instskip(NEXT) | instid1(VALU_DEP_1)
	v_lshlrev_b32_e32 v18, 3, v18
	v_add3_u32 v18, v40, v18, v38
	ds_store_2addr_b64 v18, v[10:11], v[12:13] offset1:5
	ds_store_2addr_b64 v18, v[14:15], v[8:9] offset0:10 offset1:15
	ds_store_b64 v18, v[16:17] offset:160
.LBB0_28:
	s_wait_alu 0xfffe
	s_or_b32 exec_lo, exec_lo, s6
	v_mul_i32_i24_e32 v8, 3, v36
	v_mov_b32_e32 v9, 0
	s_load_b64 s[0:1], s[0:1], 0x0
	global_wb scope:SCOPE_SE
	s_wait_dscnt 0x0
	s_wait_kmcnt 0x0
	s_barrier_signal -1
	s_barrier_wait -1
	v_lshlrev_b64_e32 v[8:9], 4, v[8:9]
	global_inv scope:SCOPE_SE
	s_add_co_i32 s6, 0, 0x1900
	v_add_co_u32 v16, vcc_lo, s24, v8
	s_wait_alu 0xfffd
	v_add_co_ci_u32_e32 v17, vcc_lo, s25, v9, vcc_lo
	s_clause 0x2
	global_load_b128 v[8:11], v[16:17], off offset:320
	global_load_b128 v[12:15], v[16:17], off offset:336
	;; [unrolled: 1-line block ×3, first 2 shown]
	ds_load_2addr_b64 v[22:25], v21 offset0:25 offset1:50
	ds_load_b64 v[26:27], v21 offset:600
	v_add_nc_u32_e32 v21, s22, v37
	s_delay_alu instid0(VALU_DEP_1) | instskip(SKIP_1) | instid1(VALU_DEP_2)
	v_mul_lo_u32 v80, v21, v36
	v_mul_lo_u32 v21, v21, 25
	v_and_b32_e32 v36, 63, v80
	s_delay_alu instid0(VALU_DEP_2) | instskip(SKIP_1) | instid1(VALU_DEP_3)
	v_add_nc_u32_e32 v38, v80, v21
	v_lshrrev_b32_e32 v37, 2, v80
	v_lshl_add_u32 v36, v36, 4, 0
	s_delay_alu instid0(VALU_DEP_3)
	v_add_nc_u32_e32 v76, v38, v21
	v_lshrrev_b32_e32 v40, 2, v38
	v_and_b32_e32 v39, 63, v38
	v_and_b32_e32 v37, 0x3f0, v37
	v_lshrrev_b32_e32 v50, 8, v38
	v_add_nc_u32_e32 v53, v76, v21
	v_lshrrev_b32_e32 v54, 2, v76
	v_and_b32_e32 v52, 0x3f0, v40
	v_and_b32_e32 v21, 63, v76
	v_lshl_add_u32 v51, v39, 4, 0
	v_lshrrev_b32_e32 v55, 2, v53
	s_wait_alu 0xfffe
	v_add_nc_u32_e32 v41, s6, v37
	ds_load_b128 v[36:39], v36 offset:6400
	ds_load_b128 v[40:43], v41 offset:1024
	v_lshl_add_u32 v21, v21, 4, 0
	s_wait_dscnt 0x0
	v_mul_f64_e32 v[66:67], v[38:39], v[42:43]
	v_mul_f64_e32 v[42:43], v[36:37], v[42:43]
	s_delay_alu instid0(VALU_DEP_2) | instskip(NEXT) | instid1(VALU_DEP_2)
	v_fma_f64 v[36:37], v[36:37], v[40:41], -v[66:67]
	v_fma_f64 v[38:39], v[38:39], v[40:41], v[42:43]
	s_wait_loadcnt 0x2
	v_mul_f64_e32 v[44:45], v[22:23], v[10:11]
	v_mul_f64_e32 v[10:11], v[0:1], v[10:11]
	s_wait_loadcnt 0x1
	v_mul_f64_e32 v[46:47], v[24:25], v[14:15]
	v_mul_f64_e32 v[14:15], v[2:3], v[14:15]
	;; [unrolled: 3-line block ×3, first 2 shown]
	v_fma_f64 v[56:57], v[0:1], v[8:9], -v[44:45]
	v_fma_f64 v[58:59], v[22:23], v[8:9], v[10:11]
	v_fma_f64 v[60:61], v[2:3], v[12:13], -v[46:47]
	v_fma_f64 v[62:63], v[24:25], v[12:13], v[14:15]
	v_fma_f64 v[25:26], v[26:27], v[16:17], v[48:49]
	v_fma_f64 v[18:19], v[6:7], v[16:17], -v[18:19]
	v_and_b32_e32 v6, 63, v53
	v_and_b32_e32 v7, 0x3f0, v55
	;; [unrolled: 1-line block ×3, first 2 shown]
	v_add_nc_u32_e32 v9, s6, v52
	ds_load_b128 v[0:3], v51 offset:6400
	v_lshl_add_u32 v10, v6, 4, 0
	v_add_nc_u32_e32 v14, s6, v7
	v_add_nc_u32_e32 v27, s6, v8
	ds_load_b128 v[6:9], v9 offset:1024
	ds_load_b128 v[10:13], v10 offset:6400
	;; [unrolled: 1-line block ×5, first 2 shown]
	ds_load_b64 v[64:65], v20
	v_lshrrev_b32_e32 v27, 8, v53
	v_and_b32_e32 v20, 0x3f0, v50
	s_delay_alu instid0(VALU_DEP_2) | instskip(NEXT) | instid1(VALU_DEP_2)
	v_and_b32_e32 v27, 0x3f0, v27
	v_add_nc_u32_e32 v20, s6, v20
	s_delay_alu instid0(VALU_DEP_2)
	v_add_nc_u32_e32 v27, s6, v27
	ds_load_b128 v[48:51], v20 offset:2048
	ds_load_b128 v[52:55], v27 offset:2048
	s_wait_dscnt 0x7
	v_mul_f64_e32 v[70:71], v[2:3], v[8:9]
	s_wait_dscnt 0x5
	v_mul_f64_e32 v[68:69], v[12:13], v[16:17]
	v_mul_f64_e32 v[78:79], v[10:11], v[16:17]
	s_wait_dscnt 0x3
	v_mul_f64_e32 v[72:73], v[23:24], v[46:47]
	v_mul_f64_e32 v[46:47], v[21:22], v[46:47]
	v_add_f64_e64 v[60:61], v[4:5], -v[60:61]
	s_wait_dscnt 0x2
	v_add_f64_e64 v[62:63], v[64:65], -v[62:63]
	v_add_f64_e64 v[25:26], v[58:59], -v[25:26]
	;; [unrolled: 1-line block ×3, first 2 shown]
	v_lshrrev_b32_e32 v18, 8, v76
	v_mul_f64_e32 v[76:77], v[0:1], v[8:9]
	v_lshrrev_b32_e32 v8, 8, v80
	s_delay_alu instid0(VALU_DEP_3) | instskip(NEXT) | instid1(VALU_DEP_2)
	v_and_b32_e32 v9, 0x3f0, v18
	v_and_b32_e32 v8, 0x3f0, v8
	s_delay_alu instid0(VALU_DEP_2) | instskip(NEXT) | instid1(VALU_DEP_2)
	v_add_nc_u32_e32 v9, s6, v9
	v_add_nc_u32_e32 v16, s6, v8
	v_fma_f64 v[0:1], v[0:1], v[6:7], -v[70:71]
	v_fma_f64 v[66:67], v[10:11], v[14:15], -v[68:69]
	ds_load_b128 v[8:11], v9 offset:2048
	ds_load_b128 v[16:19], v16 offset:2048
	v_fma_f64 v[20:21], v[21:22], v[44:45], -v[72:73]
	v_fma_f64 v[12:13], v[12:13], v[14:15], v[78:79]
	global_wb scope:SCOPE_SE
	s_wait_dscnt 0x0
	s_barrier_signal -1
	s_barrier_wait -1
	v_fma_f64 v[4:5], v[4:5], 2.0, -v[60:61]
	v_fma_f64 v[64:65], v[64:65], 2.0, -v[62:63]
	;; [unrolled: 1-line block ×4, first 2 shown]
	v_add_f64_e32 v[40:41], v[62:63], v[74:75]
	v_fma_f64 v[2:3], v[2:3], v[6:7], v[76:77]
	v_fma_f64 v[6:7], v[23:24], v[44:45], v[46:47]
	v_add_f64_e64 v[24:25], v[60:61], -v[25:26]
	global_inv scope:SCOPE_SE
	v_mul_f64_e32 v[44:45], v[36:37], v[18:19]
	v_mul_f64_e32 v[18:19], v[38:39], v[18:19]
	;; [unrolled: 1-line block ×5, first 2 shown]
	v_add_f64_e64 v[46:47], v[64:65], -v[58:59]
	v_add_f64_e64 v[56:57], v[4:5], -v[56:57]
	v_mul_f64_e32 v[26:27], v[2:3], v[50:51]
	v_mul_f64_e32 v[10:11], v[6:7], v[10:11]
	;; [unrolled: 1-line block ×3, first 2 shown]
	v_fma_f64 v[2:3], v[48:49], v[2:3], v[22:23]
	v_fma_f64 v[12:13], v[52:53], v[12:13], v[14:15]
	;; [unrolled: 1-line block ×4, first 2 shown]
	v_fma_f64 v[22:23], v[62:63], 2.0, -v[40:41]
	v_fma_f64 v[16:17], v[16:17], v[36:37], -v[18:19]
	v_fma_f64 v[38:39], v[64:65], 2.0, -v[46:47]
	v_fma_f64 v[42:43], v[4:5], 2.0, -v[56:57]
	;; [unrolled: 1-line block ×3, first 2 shown]
	v_fma_f64 v[18:19], v[48:49], v[0:1], -v[26:27]
	v_fma_f64 v[10:11], v[8:9], v[20:21], -v[10:11]
	;; [unrolled: 1-line block ×3, first 2 shown]
	v_mul_f64_e32 v[0:1], v[40:41], v[12:13]
	v_mul_f64_e32 v[12:13], v[24:25], v[12:13]
	v_mul_f64_e32 v[26:27], v[46:47], v[6:7]
	v_mul_f64_e32 v[6:7], v[56:57], v[6:7]
	v_mul_f64_e32 v[20:21], v[22:23], v[2:3]
	v_mul_f64_e32 v[36:37], v[38:39], v[14:15]
	v_mul_f64_e32 v[14:15], v[42:43], v[14:15]
	v_mul_f64_e32 v[44:45], v[4:5], v[2:3]
	v_fma_f64 v[0:1], v[24:25], v[8:9], -v[0:1]
	v_fma_f64 v[2:3], v[40:41], v[8:9], v[12:13]
	v_fma_f64 v[8:9], v[56:57], v[10:11], -v[26:27]
	v_fma_f64 v[10:11], v[46:47], v[10:11], v[6:7]
	v_fma_f64 v[4:5], v[4:5], v[18:19], -v[20:21]
	v_fma_f64 v[12:13], v[42:43], v[16:17], -v[36:37]
	v_fma_f64 v[14:15], v[38:39], v[16:17], v[14:15]
	v_fma_f64 v[6:7], v[22:23], v[18:19], v[44:45]
	ds_store_b128 v35, v[8:11] offset:800
	ds_store_b128 v35, v[0:3] offset:1200
	ds_store_b128 v35, v[12:15]
	ds_store_b128 v35, v[4:7] offset:400
	global_wb scope:SCOPE_SE
	s_wait_dscnt 0x0
	s_barrier_signal -1
	s_barrier_wait -1
	global_inv scope:SCOPE_SE
	s_and_saveexec_b32 s6, s8
	s_cbranch_execz .LBB0_30
; %bb.29:
	v_mad_co_u64_u32 v[0:1], null, s14, v32, 0
	v_mad_co_u64_u32 v[2:3], null, s12, v31, 0
	v_mad_co_u64_u32 v[8:9], null, s12, v29, 0
	v_mad_co_u64_u32 v[16:17], null, s12, v30, 0
	s_mul_u64 s[0:1], s[0:1], s[20:21]
	s_lshl_b64 s[4:5], s[4:5], 4
	s_delay_alu instid0(VALU_DEP_3)
	v_mad_co_u64_u32 v[4:5], null, s15, v32, v[1:2]
	s_wait_alu 0xfffe
	s_lshl_b64 s[0:1], s[0:1], 4
	v_mad_co_u64_u32 v[18:19], null, s12, v28, 0
	s_wait_alu 0xfffe
	s_add_nc_u64 s[0:1], s[2:3], s[0:1]
	v_add3_u32 v12, 0, v33, v34
	s_wait_alu 0xfffe
	s_add_nc_u64 s[0:1], s[0:1], s[4:5]
	v_mad_co_u64_u32 v[5:6], null, s13, v31, v[3:4]
	v_dual_mov_b32 v1, v4 :: v_dual_mov_b32 v4, v9
	s_delay_alu instid0(VALU_DEP_1) | instskip(NEXT) | instid1(VALU_DEP_3)
	v_lshlrev_b64_e32 v[0:1], 4, v[0:1]
	v_mov_b32_e32 v3, v5
	v_mov_b32_e32 v5, v17
	s_wait_alu 0xfffe
	s_delay_alu instid0(VALU_DEP_3)
	v_add_co_u32 v25, vcc_lo, s0, v0
	s_wait_alu 0xfffd
	v_add_co_ci_u32_e32 v26, vcc_lo, s1, v1, vcc_lo
	v_mad_co_u64_u32 v[0:1], null, s13, v29, v[4:5]
	v_lshlrev_b64_e32 v[2:3], 4, v[2:3]
	v_mad_co_u64_u32 v[4:5], null, s13, v30, v[5:6]
	v_mov_b32_e32 v1, v19
	s_delay_alu instid0(VALU_DEP_4) | instskip(NEXT) | instid1(VALU_DEP_4)
	v_mov_b32_e32 v9, v0
	v_add_co_u32 v20, vcc_lo, v25, v2
	s_delay_alu instid0(VALU_DEP_3)
	v_mad_co_u64_u32 v[22:23], null, s13, v28, v[1:2]
	s_wait_alu 0xfffd
	v_add_co_ci_u32_e32 v21, vcc_lo, v26, v3, vcc_lo
	v_mov_b32_e32 v17, v4
	ds_load_b128 v[0:3], v12
	ds_load_b128 v[4:7], v12 offset:400
	v_lshlrev_b64_e32 v[23:24], 4, v[8:9]
	ds_load_b128 v[8:11], v12 offset:800
	ds_load_b128 v[12:15], v12 offset:1200
	v_mov_b32_e32 v19, v22
	v_lshlrev_b64_e32 v[16:17], 4, v[16:17]
	v_add_co_u32 v22, vcc_lo, v25, v23
	s_delay_alu instid0(VALU_DEP_3) | instskip(SKIP_2) | instid1(VALU_DEP_4)
	v_lshlrev_b64_e32 v[18:19], 4, v[18:19]
	s_wait_alu 0xfffd
	v_add_co_ci_u32_e32 v23, vcc_lo, v26, v24, vcc_lo
	v_add_co_u32 v16, vcc_lo, v25, v16
	s_wait_alu 0xfffd
	v_add_co_ci_u32_e32 v17, vcc_lo, v26, v17, vcc_lo
	v_add_co_u32 v18, vcc_lo, v25, v18
	s_wait_alu 0xfffd
	v_add_co_ci_u32_e32 v19, vcc_lo, v26, v19, vcc_lo
	s_wait_dscnt 0x3
	global_store_b128 v[20:21], v[0:3], off
	s_wait_dscnt 0x2
	global_store_b128 v[22:23], v[4:7], off
	;; [unrolled: 2-line block ×4, first 2 shown]
.LBB0_30:
	s_nop 0
	s_sendmsg sendmsg(MSG_DEALLOC_VGPRS)
	s_endpgm
	.section	.rodata,"a",@progbits
	.p2align	6, 0x0
	.amdhsa_kernel fft_rtc_fwd_len100_factors_5_5_4_wgs_200_tpt_25_halfLds_dp_op_CI_CI_sbcc_twdbase6_3step
		.amdhsa_group_segment_fixed_size 0
		.amdhsa_private_segment_fixed_size 0
		.amdhsa_kernarg_size 112
		.amdhsa_user_sgpr_count 2
		.amdhsa_user_sgpr_dispatch_ptr 0
		.amdhsa_user_sgpr_queue_ptr 0
		.amdhsa_user_sgpr_kernarg_segment_ptr 1
		.amdhsa_user_sgpr_dispatch_id 0
		.amdhsa_user_sgpr_private_segment_size 0
		.amdhsa_wavefront_size32 1
		.amdhsa_uses_dynamic_stack 0
		.amdhsa_enable_private_segment 0
		.amdhsa_system_sgpr_workgroup_id_x 1
		.amdhsa_system_sgpr_workgroup_id_y 0
		.amdhsa_system_sgpr_workgroup_id_z 0
		.amdhsa_system_sgpr_workgroup_info 0
		.amdhsa_system_vgpr_workitem_id 0
		.amdhsa_next_free_vgpr 81
		.amdhsa_next_free_sgpr 59
		.amdhsa_reserve_vcc 1
		.amdhsa_float_round_mode_32 0
		.amdhsa_float_round_mode_16_64 0
		.amdhsa_float_denorm_mode_32 3
		.amdhsa_float_denorm_mode_16_64 3
		.amdhsa_fp16_overflow 0
		.amdhsa_workgroup_processor_mode 1
		.amdhsa_memory_ordered 1
		.amdhsa_forward_progress 0
		.amdhsa_round_robin_scheduling 0
		.amdhsa_exception_fp_ieee_invalid_op 0
		.amdhsa_exception_fp_denorm_src 0
		.amdhsa_exception_fp_ieee_div_zero 0
		.amdhsa_exception_fp_ieee_overflow 0
		.amdhsa_exception_fp_ieee_underflow 0
		.amdhsa_exception_fp_ieee_inexact 0
		.amdhsa_exception_int_div_zero 0
	.end_amdhsa_kernel
	.text
.Lfunc_end0:
	.size	fft_rtc_fwd_len100_factors_5_5_4_wgs_200_tpt_25_halfLds_dp_op_CI_CI_sbcc_twdbase6_3step, .Lfunc_end0-fft_rtc_fwd_len100_factors_5_5_4_wgs_200_tpt_25_halfLds_dp_op_CI_CI_sbcc_twdbase6_3step
                                        ; -- End function
	.section	.AMDGPU.csdata,"",@progbits
; Kernel info:
; codeLenInByte = 5444
; NumSgprs: 61
; NumVgprs: 81
; ScratchSize: 0
; MemoryBound: 0
; FloatMode: 240
; IeeeMode: 1
; LDSByteSize: 0 bytes/workgroup (compile time only)
; SGPRBlocks: 7
; VGPRBlocks: 10
; NumSGPRsForWavesPerEU: 61
; NumVGPRsForWavesPerEU: 81
; Occupancy: 16
; WaveLimiterHint : 1
; COMPUTE_PGM_RSRC2:SCRATCH_EN: 0
; COMPUTE_PGM_RSRC2:USER_SGPR: 2
; COMPUTE_PGM_RSRC2:TRAP_HANDLER: 0
; COMPUTE_PGM_RSRC2:TGID_X_EN: 1
; COMPUTE_PGM_RSRC2:TGID_Y_EN: 0
; COMPUTE_PGM_RSRC2:TGID_Z_EN: 0
; COMPUTE_PGM_RSRC2:TIDIG_COMP_CNT: 0
	.text
	.p2alignl 7, 3214868480
	.fill 96, 4, 3214868480
	.type	__hip_cuid_9d857b49233e7843,@object ; @__hip_cuid_9d857b49233e7843
	.section	.bss,"aw",@nobits
	.globl	__hip_cuid_9d857b49233e7843
__hip_cuid_9d857b49233e7843:
	.byte	0                               ; 0x0
	.size	__hip_cuid_9d857b49233e7843, 1

	.ident	"AMD clang version 19.0.0git (https://github.com/RadeonOpenCompute/llvm-project roc-6.4.0 25133 c7fe45cf4b819c5991fe208aaa96edf142730f1d)"
	.section	".note.GNU-stack","",@progbits
	.addrsig
	.addrsig_sym __hip_cuid_9d857b49233e7843
	.amdgpu_metadata
---
amdhsa.kernels:
  - .args:
      - .actual_access:  read_only
        .address_space:  global
        .offset:         0
        .size:           8
        .value_kind:     global_buffer
      - .address_space:  global
        .offset:         8
        .size:           8
        .value_kind:     global_buffer
      - .offset:         16
        .size:           8
        .value_kind:     by_value
      - .actual_access:  read_only
        .address_space:  global
        .offset:         24
        .size:           8
        .value_kind:     global_buffer
      - .actual_access:  read_only
        .address_space:  global
        .offset:         32
        .size:           8
        .value_kind:     global_buffer
      - .actual_access:  read_only
        .address_space:  global
        .offset:         40
        .size:           8
        .value_kind:     global_buffer
      - .offset:         48
        .size:           8
        .value_kind:     by_value
      - .actual_access:  read_only
        .address_space:  global
        .offset:         56
        .size:           8
        .value_kind:     global_buffer
      - .actual_access:  read_only
        .address_space:  global
        .offset:         64
        .size:           8
        .value_kind:     global_buffer
      - .offset:         72
        .size:           4
        .value_kind:     by_value
      - .actual_access:  read_only
        .address_space:  global
        .offset:         80
        .size:           8
        .value_kind:     global_buffer
      - .actual_access:  read_only
        .address_space:  global
        .offset:         88
        .size:           8
        .value_kind:     global_buffer
      - .actual_access:  read_only
        .address_space:  global
        .offset:         96
        .size:           8
        .value_kind:     global_buffer
      - .actual_access:  write_only
        .address_space:  global
        .offset:         104
        .size:           8
        .value_kind:     global_buffer
    .group_segment_fixed_size: 0
    .kernarg_segment_align: 8
    .kernarg_segment_size: 112
    .language:       OpenCL C
    .language_version:
      - 2
      - 0
    .max_flat_workgroup_size: 200
    .name:           fft_rtc_fwd_len100_factors_5_5_4_wgs_200_tpt_25_halfLds_dp_op_CI_CI_sbcc_twdbase6_3step
    .private_segment_fixed_size: 0
    .sgpr_count:     61
    .sgpr_spill_count: 0
    .symbol:         fft_rtc_fwd_len100_factors_5_5_4_wgs_200_tpt_25_halfLds_dp_op_CI_CI_sbcc_twdbase6_3step.kd
    .uniform_work_group_size: 1
    .uses_dynamic_stack: false
    .vgpr_count:     81
    .vgpr_spill_count: 0
    .wavefront_size: 32
    .workgroup_processor_mode: 1
amdhsa.target:   amdgcn-amd-amdhsa--gfx1201
amdhsa.version:
  - 1
  - 2
...

	.end_amdgpu_metadata
